;; amdgpu-corpus repo=ROCm/rocFFT kind=compiled arch=gfx906 opt=O3
	.text
	.amdgcn_target "amdgcn-amd-amdhsa--gfx906"
	.amdhsa_code_object_version 6
	.protected	fft_rtc_fwd_len96_factors_3_4_8_wgs_192_tpt_8_dim3_sp_ip_CI_sbcc_twdbase8_3step_dirReg_intrinsicReadWrite ; -- Begin function fft_rtc_fwd_len96_factors_3_4_8_wgs_192_tpt_8_dim3_sp_ip_CI_sbcc_twdbase8_3step_dirReg_intrinsicReadWrite
	.globl	fft_rtc_fwd_len96_factors_3_4_8_wgs_192_tpt_8_dim3_sp_ip_CI_sbcc_twdbase8_3step_dirReg_intrinsicReadWrite
	.p2align	8
	.type	fft_rtc_fwd_len96_factors_3_4_8_wgs_192_tpt_8_dim3_sp_ip_CI_sbcc_twdbase8_3step_dirReg_intrinsicReadWrite,@function
fft_rtc_fwd_len96_factors_3_4_8_wgs_192_tpt_8_dim3_sp_ip_CI_sbcc_twdbase8_3step_dirReg_intrinsicReadWrite: ; @fft_rtc_fwd_len96_factors_3_4_8_wgs_192_tpt_8_dim3_sp_ip_CI_sbcc_twdbase8_3step_dirReg_intrinsicReadWrite
; %bb.0:
	s_load_dwordx4 s[0:3], s[4:5], 0x10
	s_mov_b32 s7, 0
	s_mov_b64 s[20:21], 0
	s_waitcnt lgkmcnt(0)
	s_load_dwordx2 s[10:11], s[0:1], 0x8
	s_waitcnt lgkmcnt(0)
	s_add_u32 s8, s10, -1
	s_addc_u32 s9, s11, -1
	s_add_u32 s12, 0, 0xaaaa0000
	s_addc_u32 s13, 0, 42
	s_mul_hi_u32 s15, s12, 0xffffffe8
	s_add_i32 s13, s13, 0xaaaaa80
	s_sub_i32 s15, s15, s12
	s_mul_i32 s18, s13, 0xffffffe8
	s_mul_i32 s14, s12, 0xffffffe8
	s_add_i32 s15, s15, s18
	s_mul_hi_u32 s16, s13, s14
	s_mul_i32 s17, s13, s14
	s_mul_i32 s19, s12, s15
	s_mul_hi_u32 s14, s12, s14
	s_mul_hi_u32 s18, s12, s15
	s_add_u32 s14, s14, s19
	s_addc_u32 s18, 0, s18
	s_add_u32 s14, s14, s17
	s_mul_hi_u32 s19, s13, s15
	s_addc_u32 s14, s18, s16
	s_addc_u32 s16, s19, 0
	s_mul_i32 s15, s13, s15
	s_add_u32 s14, s14, s15
	v_mov_b32_e32 v1, s14
	s_addc_u32 s15, 0, s16
	v_add_co_u32_e32 v1, vcc, s12, v1
	s_cmp_lg_u64 vcc, 0
	s_addc_u32 s12, s13, s15
	v_readfirstlane_b32 s15, v1
	s_mul_i32 s14, s8, s12
	s_mul_hi_u32 s16, s8, s15
	s_mul_hi_u32 s13, s8, s12
	s_add_u32 s14, s16, s14
	s_addc_u32 s13, 0, s13
	s_mul_hi_u32 s17, s9, s15
	s_mul_i32 s15, s9, s15
	s_add_u32 s14, s14, s15
	s_mul_hi_u32 s16, s9, s12
	s_addc_u32 s13, s13, s17
	s_addc_u32 s14, s16, 0
	s_mul_i32 s12, s9, s12
	s_add_u32 s12, s13, s12
	s_addc_u32 s13, 0, s14
	s_add_u32 s14, s12, 1
	s_addc_u32 s15, s13, 0
	s_add_u32 s16, s12, 2
	s_mul_i32 s18, s13, 24
	s_mul_hi_u32 s19, s12, 24
	s_addc_u32 s17, s13, 0
	s_add_i32 s19, s19, s18
	s_mul_i32 s18, s12, 24
	v_mov_b32_e32 v1, s18
	v_sub_co_u32_e32 v1, vcc, s8, v1
	s_cmp_lg_u64 vcc, 0
	s_subb_u32 s8, s9, s19
	v_subrev_co_u32_e32 v2, vcc, 24, v1
	s_cmp_lg_u64 vcc, 0
	s_subb_u32 s9, s8, 0
	v_readfirstlane_b32 s18, v2
	s_cmp_gt_u32 s18, 23
	s_cselect_b32 s18, -1, 0
	s_cmp_eq_u32 s9, 0
	s_cselect_b32 s9, s18, -1
	s_cmp_lg_u32 s9, 0
	s_cselect_b32 s9, s16, s14
	s_cselect_b32 s14, s17, s15
	v_readfirstlane_b32 s15, v1
	s_cmp_gt_u32 s15, 23
	s_cselect_b32 s15, -1, 0
	s_cmp_eq_u32 s8, 0
	s_cselect_b32 s8, s15, -1
	s_cmp_lg_u32 s8, 0
	s_cselect_b32 s9, s9, s12
	s_cselect_b32 s8, s14, s13
	s_add_u32 s18, s9, 1
	s_addc_u32 s19, s8, 0
	v_mov_b32_e32 v1, s18
	v_mov_b32_e32 v2, s19
	v_cmp_lt_u64_e32 vcc, s[6:7], v[1:2]
	s_cbranch_vccnz .LBB0_2
; %bb.1:
	v_cvt_f32_u32_e32 v1, s18
	s_sub_i32 s8, 0, s18
	s_mov_b32 s21, s7
	v_rcp_iflag_f32_e32 v1, v1
	v_mul_f32_e32 v1, 0x4f7ffffe, v1
	v_cvt_u32_f32_e32 v1, v1
	v_readfirstlane_b32 s9, v1
	s_mul_i32 s8, s8, s9
	s_mul_hi_u32 s8, s9, s8
	s_add_i32 s9, s9, s8
	s_mul_hi_u32 s8, s6, s9
	s_mul_i32 s12, s8, s18
	s_sub_i32 s12, s6, s12
	s_add_i32 s9, s8, 1
	s_sub_i32 s13, s12, s18
	s_cmp_ge_u32 s12, s18
	s_cselect_b32 s8, s9, s8
	s_cselect_b32 s12, s13, s12
	s_add_i32 s9, s8, 1
	s_cmp_ge_u32 s12, s18
	s_cselect_b32 s20, s9, s8
.LBB0_2:
	s_load_dwordx2 s[22:23], s[0:1], 0x10
	s_load_dwordx2 s[8:9], s[4:5], 0x50
	;; [unrolled: 1-line block ×3, first 2 shown]
	s_load_dwordx4 s[12:15], s[2:3], 0x0
	s_mov_b64 s[0:1], s[20:21]
	s_waitcnt lgkmcnt(0)
	v_mov_b32_e32 v1, s22
	v_mov_b32_e32 v2, s23
	v_cmp_lt_u64_e32 vcc, s[20:21], v[1:2]
	s_cbranch_vccnz .LBB0_4
; %bb.3:
	v_cvt_f32_u32_e32 v1, s22
	s_sub_i32 s0, 0, s22
	v_rcp_iflag_f32_e32 v1, v1
	v_mul_f32_e32 v1, 0x4f7ffffe, v1
	v_cvt_u32_f32_e32 v1, v1
	v_readfirstlane_b32 s1, v1
	s_mul_i32 s0, s0, s1
	s_mul_hi_u32 s0, s1, s0
	s_add_i32 s1, s1, s0
	s_mul_hi_u32 s0, s20, s1
	s_mul_i32 s0, s0, s22
	s_sub_i32 s0, s20, s0
	s_sub_i32 s1, s0, s22
	s_cmp_ge_u32 s0, s22
	s_cselect_b32 s0, s1, s0
	s_sub_i32 s1, s0, s22
	s_cmp_ge_u32 s0, s22
	s_cselect_b32 s0, s1, s0
.LBB0_4:
	s_mul_i32 s1, s22, s19
	s_mul_hi_u32 s13, s22, s18
	s_add_i32 s1, s13, s1
	s_mul_i32 s13, s23, s18
	s_mul_i32 s24, s22, s18
	s_add_i32 s25, s1, s13
	s_load_dwordx2 s[22:23], s[2:3], 0x10
	v_mov_b32_e32 v1, s24
	v_mov_b32_e32 v2, s25
	v_cmp_lt_u64_e32 vcc, s[6:7], v[1:2]
	s_mov_b64 s[26:27], 0
	s_cbranch_vccnz .LBB0_6
; %bb.5:
	v_cvt_f32_u32_e32 v1, s24
	s_sub_i32 s1, 0, s24
	v_rcp_iflag_f32_e32 v1, v1
	v_mul_f32_e32 v1, 0x4f7ffffe, v1
	v_cvt_u32_f32_e32 v1, v1
	v_readfirstlane_b32 s7, v1
	s_mul_i32 s1, s1, s7
	s_mul_hi_u32 s1, s7, s1
	s_add_i32 s7, s7, s1
	s_mul_hi_u32 s1, s6, s7
	s_mul_i32 s13, s1, s24
	s_sub_i32 s13, s6, s13
	s_add_i32 s7, s1, 1
	s_sub_i32 s15, s13, s24
	s_cmp_ge_u32 s13, s24
	s_cselect_b32 s1, s7, s1
	s_cselect_b32 s13, s15, s13
	s_add_i32 s7, s1, 1
	s_cmp_ge_u32 s13, s24
	s_cselect_b32 s26, s7, s1
.LBB0_6:
	s_mul_i32 s1, s20, s19
	s_mul_hi_u32 s7, s20, s18
	s_load_dword s2, s[2:3], 0x18
	s_add_i32 s7, s7, s1
	s_mul_i32 s1, s20, s18
	s_sub_u32 s1, s6, s1
	v_mul_u32_u24_e32 v1, 0xaab, v0
	s_subb_u32 s6, 0, s7
	s_mul_hi_u32 s7, s1, 24
	s_mul_i32 s1, s1, 24
	v_lshrrev_b32_e32 v37, 16, v1
	s_mul_i32 s6, s6, 24
	s_mul_i32 s3, s14, s1
	s_waitcnt lgkmcnt(0)
	s_mul_i32 s0, s22, s0
	v_mul_lo_u16_e32 v1, 24, v37
	s_add_i32 s6, s7, s6
	s_add_i32 s0, s0, s3
	s_mul_i32 s2, s2, s26
	v_sub_u16_e32 v28, v0, v1
	s_add_i32 s7, s2, s0
	v_mov_b32_e32 v1, s6
	v_add_co_u32_e32 v7, vcc, s1, v28
	v_addc_co_u32_e32 v8, vcc, 0, v1, vcc
	s_add_u32 s0, s1, 24
	v_mov_b32_e32 v1, s10
	s_addc_u32 s1, s6, 0
	v_mad_u64_u32 v[5:6], s[2:3], s14, v28, 0
	v_mul_lo_u32 v3, s12, v37
	v_mov_b32_e32 v2, s11
	v_add_u32_e32 v36, 8, v37
	v_cmp_le_u64_e64 s[0:1], s[0:1], v[1:2]
	v_mul_lo_u32 v2, s12, v36
	v_cmp_gt_u64_e32 vcc, s[10:11], v[7:8]
	v_add_lshl_u32 v1, v5, v3, 3
	s_or_b64 s[2:3], s[0:1], vcc
	v_cndmask_b32_e64 v6, -1, v1, s[2:3]
	v_add_lshl_u32 v1, v5, v2, 3
	v_add_u32_e32 v2, 40, v37
	v_mul_lo_u32 v3, s12, v2
	v_add_u32_e32 v2, 0x48, v37
	v_mul_lo_u32 v4, s12, v2
	s_lshl_b32 s13, s7, 3
	v_add_lshl_u32 v3, v5, v3, 3
	v_cndmask_b32_e64 v10, -1, v3, s[2:3]
	v_add_lshl_u32 v3, v5, v4, 3
	s_mov_b32 s11, 0x20000
	s_mov_b32 s10, -2
	v_cndmask_b32_e64 v1, -1, v1, s[2:3]
	v_cndmask_b32_e64 v11, -1, v3, s[2:3]
	v_or_b32_e32 v29, 16, v37
	buffer_load_dwordx2 v[1:2], v1, s[8:11], s13 offen
	s_nop 0
	buffer_load_dwordx2 v[3:4], v10, s[8:11], s13 offen
	buffer_load_dwordx2 v[8:9], v11, s[8:11], s13 offen
	v_or_b32_e32 v10, 48, v37
	v_mul_lo_u32 v11, s12, v29
	v_mul_lo_u32 v10, s12, v10
	v_or_b32_e32 v17, 64, v37
	v_mul_lo_u32 v17, s12, v17
	v_add_lshl_u32 v11, v5, v11, 3
	v_add_lshl_u32 v10, v5, v10, 3
	v_cndmask_b32_e64 v14, -1, v11, s[2:3]
	v_or_b32_e32 v11, 0x50, v37
	v_mul_lo_u32 v15, s12, v11
	v_cndmask_b32_e64 v16, -1, v10, s[2:3]
	buffer_load_dwordx2 v[10:11], v14, s[8:11], s13 offen
	buffer_load_dwordx2 v[12:13], v16, s[8:11], s13 offen
	v_or_b32_e32 v16, 32, v37
	v_mul_lo_u32 v16, s12, v16
	v_add_lshl_u32 v14, v5, v15, 3
	v_cndmask_b32_e64 v14, -1, v14, s[2:3]
	buffer_load_dwordx2 v[14:15], v14, s[8:11], s13 offen
	v_add_lshl_u32 v16, v5, v16, 3
	v_add_u32_e32 v22, 56, v37
	v_cndmask_b32_e64 v23, -1, v16, s[2:3]
	v_add_lshl_u32 v16, v5, v17, 3
	v_add_u32_e32 v30, 24, v37
	v_cndmask_b32_e64 v24, -1, v16, s[2:3]
	buffer_load_dwordx2 v[16:17], v6, s[8:11], s13 offen
	buffer_load_dwordx2 v[18:19], v23, s[8:11], s13 offen
	;; [unrolled: 1-line block ×3, first 2 shown]
	v_mul_lo_u32 v6, s12, v22
	v_mul_lo_u32 v22, s12, v30
	v_add_u32_e32 v23, 0x58, v37
	v_mul_lo_u32 v23, s12, v23
	v_add_lshl_u32 v6, v5, v6, 3
	v_add_lshl_u32 v22, v5, v22, 3
	v_cndmask_b32_e64 v31, -1, v22, s[2:3]
	v_add_lshl_u32 v23, v5, v23, 3
	v_cndmask_b32_e64 v6, -1, v6, s[2:3]
	v_cndmask_b32_e64 v32, -1, v23, s[2:3]
	buffer_load_dwordx2 v[22:23], v31, s[8:11], s13 offen
	buffer_load_dwordx2 v[24:25], v6, s[8:11], s13 offen
	;; [unrolled: 1-line block ×3, first 2 shown]
	v_lshlrev_b32_e32 v28, 3, v28
	s_movk_i32 s6, 0xfe80
	s_movk_i32 s18, 0x60
	s_waitcnt vmcnt(10)
	v_add_f32_e32 v6, v1, v3
	s_waitcnt vmcnt(9)
	v_add_f32_e32 v31, v3, v8
	v_add_f32_e32 v34, v4, v9
	;; [unrolled: 1-line block ×3, first 2 shown]
	v_sub_f32_e32 v35, v3, v8
	v_add_f32_e32 v3, v6, v8
	v_fma_f32 v1, -0.5, v31, v1
	v_fmac_f32_e32 v2, -0.5, v34
	v_mul_u32_u24_e32 v6, 0x240, v37
	v_sub_f32_e32 v32, v4, v9
	v_add_f32_e32 v4, v33, v9
	v_add3_u32 v31, 0, v6, v28
	v_mov_b32_e32 v8, v1
	v_mov_b32_e32 v9, v2
	v_fmac_f32_e32 v8, 0x3f5db3d7, v32
	v_fmac_f32_e32 v9, 0xbf5db3d7, v35
	v_add_u32_e32 v6, 0x1000, v31
	ds_write2_b64 v6, v[3:4], v[8:9] offset0:64 offset1:88
	s_waitcnt vmcnt(6)
	v_add_f32_e32 v6, v12, v14
	v_add_f32_e32 v8, v13, v15
	;; [unrolled: 1-line block ×4, first 2 shown]
	v_fma_f32 v10, -0.5, v6, v10
	v_fmac_f32_e32 v11, -0.5, v8
	v_sub_f32_e32 v33, v13, v15
	v_sub_f32_e32 v12, v12, v14
	v_mov_b32_e32 v8, v10
	v_mov_b32_e32 v9, v11
	v_add_f32_e32 v3, v3, v14
	v_add_f32_e32 v4, v4, v15
	v_fmac_f32_e32 v8, 0x3f5db3d7, v33
	v_fmac_f32_e32 v9, 0xbf5db3d7, v12
	v_add_u32_e32 v6, 0x2000, v31
	ds_write2_b64 v6, v[3:4], v[8:9] offset0:128 offset1:152
	s_waitcnt vmcnt(3)
	v_add_f32_e32 v6, v18, v20
	v_add_f32_e32 v8, v19, v21
	;; [unrolled: 1-line block ×4, first 2 shown]
	v_fma_f32 v16, -0.5, v6, v16
	v_fmac_f32_e32 v17, -0.5, v8
	v_sub_f32_e32 v13, v19, v21
	v_sub_f32_e32 v14, v18, v20
	v_mov_b32_e32 v8, v16
	v_mov_b32_e32 v9, v17
	v_add_f32_e32 v3, v3, v20
	v_add_f32_e32 v4, v4, v21
	v_fmac_f32_e32 v8, 0x3f5db3d7, v13
	v_fmac_f32_e32 v9, 0xbf5db3d7, v14
	ds_write2_b64 v31, v[3:4], v[8:9] offset1:24
	s_waitcnt vmcnt(0)
	v_add_f32_e32 v6, v24, v26
	v_add_f32_e32 v9, v25, v27
	v_fmac_f32_e32 v1, 0xbf5db3d7, v32
	v_fmac_f32_e32 v2, 0x3f5db3d7, v35
	v_add_f32_e32 v3, v22, v24
	v_add_f32_e32 v4, v23, v25
	ds_write_b64 v31, v[1:2] offset:4992
	v_fma_f32 v1, -0.5, v6, v22
	v_fmac_f32_e32 v23, -0.5, v9
	v_add_f32_e32 v3, v3, v26
	v_sub_f32_e32 v8, v25, v27
	v_sub_f32_e32 v15, v24, v26
	v_fmac_f32_e32 v16, 0xbf5db3d7, v13
	v_fmac_f32_e32 v17, 0x3f5db3d7, v14
	;; [unrolled: 1-line block ×4, first 2 shown]
	v_mov_b32_e32 v2, v1
	v_mov_b32_e32 v6, v23
	v_add_f32_e32 v4, v4, v27
	ds_write_b64 v31, v[16:17] offset:384
	v_fmac_f32_e32 v2, 0x3f5db3d7, v8
	v_fmac_f32_e32 v6, 0xbf5db3d7, v15
	ds_write_b64 v31, v[10:11] offset:9600
	ds_write_b64 v31, v[3:4] offset:13824
	v_add_u32_e32 v3, 0x3400, v31
	v_fmac_f32_e32 v1, 0xbf5db3d7, v8
	v_fmac_f32_e32 v23, 0x3f5db3d7, v15
	ds_write2_b32 v3, v2, v6 offset0:176 offset1:177
	ds_write2_b32 v3, v1, v23 offset0:224 offset1:225
	v_mul_lo_u16_e32 v25, 0x56, v37
	v_mov_b32_e32 v6, 3
	v_mul_lo_u16_sdwa v1, v25, v6 dst_sel:DWORD dst_unused:UNUSED_PAD src0_sel:BYTE_1 src1_sel:DWORD
	v_sub_u16_e32 v26, v37, v1
	v_mul_u32_u24_sdwa v1, v26, v6 dst_sel:DWORD dst_unused:UNUSED_PAD src0_sel:BYTE_0 src1_sel:DWORD
	v_lshlrev_b32_e32 v8, 3, v1
	s_waitcnt lgkmcnt(0)
	s_barrier
	global_load_dwordx2 v[20:21], v8, s[16:17] offset:16
	v_mul_lo_u16_e32 v27, 0x56, v36
	v_mul_lo_u16_sdwa v1, v27, v6 dst_sel:DWORD dst_unused:UNUSED_PAD src0_sel:BYTE_1 src1_sel:DWORD
	v_sub_u16_e32 v32, v36, v1
	v_mul_u32_u24_sdwa v1, v32, v6 dst_sel:DWORD dst_unused:UNUSED_PAD src0_sel:BYTE_0 src1_sel:DWORD
	v_lshlrev_b32_e32 v16, 3, v1
	global_load_dwordx2 v[22:23], v16, s[16:17] offset:16
	global_load_dwordx4 v[1:4], v8, s[16:17]
	v_mul_lo_u16_e32 v33, 0x56, v29
	v_mul_lo_u16_sdwa v8, v33, v6 dst_sel:DWORD dst_unused:UNUSED_PAD src0_sel:BYTE_1 src1_sel:DWORD
	v_sub_u16_e32 v29, v29, v8
	v_mul_u32_u24_sdwa v8, v29, v6 dst_sel:DWORD dst_unused:UNUSED_PAD src0_sel:BYTE_0 src1_sel:DWORD
	v_lshlrev_b32_e32 v34, 3, v8
	global_load_dwordx4 v[8:11], v34, s[16:17]
	global_load_dwordx4 v[12:15], v16, s[16:17]
	v_mad_i32_i24 v24, v37, s6, v31
	ds_read2st64_b64 v[16:19], v24 offset0:27 offset1:30
	s_movk_i32 s6, 0x3600
	s_waitcnt vmcnt(4) lgkmcnt(0)
	v_mul_f32_e32 v35, v21, v17
	v_fma_f32 v35, v20, v16, -v35
	v_mul_f32_e32 v38, v21, v16
	v_mul_i32_i24_e32 v16, 0xfffffe80, v30
	v_add3_u32 v39, v31, s6, v16
	v_fmac_f32_e32 v38, v20, v17
	ds_read_b64 v[20:21], v39
	s_waitcnt vmcnt(3)
	v_mul_f32_e32 v16, v19, v23
	v_mul_f32_e32 v31, v18, v23
	v_fma_f32 v30, v18, v22, -v16
	v_fmac_f32_e32 v31, v19, v22
	s_waitcnt vmcnt(2) lgkmcnt(0)
	v_mul_f32_e32 v22, v2, v21
	v_fma_f32 v40, v1, v20, -v22
	global_load_dwordx2 v[22:23], v34, s[16:17] offset:16
	ds_read2st64_b64 v[16:19], v24 offset0:15 offset1:18
	v_mul_f32_e32 v20, v2, v20
	v_fmac_f32_e32 v20, v1, v21
	v_cmp_gt_u32_e64 s[6:7], s18, v0
	s_waitcnt lgkmcnt(0)
	v_mul_f32_e32 v1, v4, v19
	v_fma_f32 v21, v3, v18, -v1
	v_mul_f32_e32 v18, v4, v18
	v_fmac_f32_e32 v18, v3, v19
	ds_read2st64_b64 v[1:4], v24 offset0:21 offset1:24
	s_waitcnt vmcnt(2)
	v_mul_f32_e32 v19, v17, v9
	v_mul_f32_e32 v34, v16, v9
	v_fma_f32 v19, v16, v8, -v19
	v_fmac_f32_e32 v34, v17, v8
	s_waitcnt lgkmcnt(0)
	v_mul_f32_e32 v8, v4, v11
	v_mul_f32_e32 v42, v3, v11
	v_fma_f32 v41, v3, v10, -v8
	v_fmac_f32_e32 v42, v4, v10
	ds_read2st64_b64 v[8:11], v24 offset1:12
	s_waitcnt vmcnt(1)
	v_mul_f32_e32 v3, v2, v15
	v_fma_f32 v43, v1, v14, -v3
	v_mul_f32_e32 v44, v1, v15
	v_fmac_f32_e32 v44, v2, v14
	s_waitcnt lgkmcnt(0)
	v_mul_f32_e32 v1, v13, v11
	v_fma_f32 v45, v12, v10, -v1
	v_mul_f32_e32 v46, v13, v10
	v_sub_f32_e32 v10, v8, v21
	v_fmac_f32_e32 v46, v12, v11
	v_sub_f32_e32 v11, v9, v18
	v_fma_f32 v3, v8, 2.0, -v10
	v_sub_f32_e32 v8, v20, v38
	v_mov_b32_e32 v38, 12
	v_fma_f32 v4, v9, 2.0, -v11
	v_sub_f32_e32 v9, v40, v35
	v_mul_u32_u24_sdwa v12, v25, v38 dst_sel:DWORD dst_unused:UNUSED_PAD src0_sel:BYTE_1 src1_sel:DWORD
	v_fma_f32 v1, v40, 2.0, -v9
	v_fma_f32 v2, v20, 2.0, -v8
	v_or_b32_sdwa v20, v12, v26 dst_sel:DWORD dst_unused:UNUSED_PAD src0_sel:DWORD src1_sel:BYTE_0
	v_add_u32_e32 v18, 0xfffff400, v39
	v_sub_f32_e32 v1, v3, v1
	v_sub_f32_e32 v2, v4, v2
	;; [unrolled: 1-line block ×3, first 2 shown]
	v_add_f32_e32 v9, v11, v9
	ds_read_b32 v21, v18 offset:1536
	ds_read_b32 v25, v18
	ds_read_b32 v26, v18 offset:4
	ds_read_b64 v[12:13], v18
	ds_read_b32 v35, v18 offset:1540
	ds_read_b64 v[14:15], v18 offset:1536
	ds_read_b64 v[16:17], v24 offset:16896
	v_mul_u32_u24_e32 v20, 0xc0, v20
	v_fma_f32 v3, v3, 2.0, -v1
	v_fma_f32 v4, v4, 2.0, -v2
	;; [unrolled: 1-line block ×4, first 2 shown]
	v_add3_u32 v20, 0, v20, v28
	s_waitcnt vmcnt(0) lgkmcnt(0)
	s_barrier
	ds_write2_b64 v20, v[3:4], v[10:11] offset1:72
	ds_write2_b64 v20, v[1:2], v[8:9] offset0:144 offset1:216
	v_sub_f32_e32 v10, v12, v43
	v_sub_f32_e32 v11, v13, v44
	;; [unrolled: 1-line block ×4, first 2 shown]
	v_mul_u32_u24_sdwa v12, v27, v38 dst_sel:DWORD dst_unused:UNUSED_PAD src0_sel:BYTE_1 src1_sel:DWORD
	v_fma_f32 v3, v25, 2.0, -v10
	v_fma_f32 v4, v26, 2.0, -v11
	;; [unrolled: 1-line block ×4, first 2 shown]
	v_or_b32_sdwa v12, v12, v32 dst_sel:DWORD dst_unused:UNUSED_PAD src0_sel:DWORD src1_sel:BYTE_0
	v_sub_f32_e32 v1, v3, v1
	v_sub_f32_e32 v2, v4, v2
	v_sub_f32_e32 v8, v10, v8
	v_add_f32_e32 v9, v11, v9
	v_mul_u32_u24_e32 v12, 0xc0, v12
	v_fma_f32 v3, v3, 2.0, -v1
	v_fma_f32 v4, v4, 2.0, -v2
	;; [unrolled: 1-line block ×4, first 2 shown]
	v_add3_u32 v12, 0, v12, v28
	ds_write2_b64 v12, v[3:4], v[10:11] offset1:72
	ds_write2_b64 v12, v[1:2], v[8:9] offset0:144 offset1:216
	v_sub_f32_e32 v4, v15, v42
	v_sub_f32_e32 v3, v14, v41
	v_fma_f32 v8, v21, 2.0, -v3
	v_fma_f32 v9, v35, 2.0, -v4
	v_mul_f32_e32 v1, v17, v23
	v_fma_f32 v1, v16, v22, -v1
	v_mul_f32_e32 v2, v16, v23
	v_fmac_f32_e32 v2, v17, v22
	v_sub_f32_e32 v1, v19, v1
	v_sub_f32_e32 v2, v34, v2
	v_fma_f32 v10, v19, 2.0, -v1
	v_add_f32_e32 v13, v4, v1
	v_mul_u32_u24_sdwa v1, v33, v38 dst_sel:DWORD dst_unused:UNUSED_PAD src0_sel:BYTE_1 src1_sel:DWORD
	v_fma_f32 v11, v34, 2.0, -v2
	v_or_b32_sdwa v1, v1, v29 dst_sel:DWORD dst_unused:UNUSED_PAD src0_sel:DWORD src1_sel:BYTE_0
	v_sub_f32_e32 v10, v8, v10
	v_sub_f32_e32 v11, v9, v11
	;; [unrolled: 1-line block ×3, first 2 shown]
	v_mul_u32_u24_e32 v1, 0xc0, v1
	v_fma_f32 v8, v8, 2.0, -v10
	v_fma_f32 v9, v9, 2.0, -v11
	;; [unrolled: 1-line block ×4, first 2 shown]
	v_add3_u32 v1, 0, v1, v28
	ds_write2_b64 v1, v[8:9], v[14:15] offset1:72
	ds_write2_b64 v1, v[10:11], v[12:13] offset0:144 offset1:216
	v_add_u32_e32 v1, 0x100, v24
	s_waitcnt lgkmcnt(0)
	s_barrier
	ds_read_b64 v[16:17], v24
	ds_read_b64 v[32:33], v24 offset:9216
	ds_read_b64 v[30:31], v24 offset:11520
	ds_read_b64 v[28:29], v24 offset:13824
	ds_read_b64 v[34:35], v39
	ds_read_b64 v[26:27], v24 offset:16128
	ds_read2st64_b64 v[1:4], v1 offset0:4 offset1:13
                                        ; implicit-def: $vgpr19
                                        ; implicit-def: $vgpr21
                                        ; implicit-def: $vgpr23
                                        ; implicit-def: $vgpr25
	s_and_saveexec_b64 s[14:15], s[6:7]
	s_cbranch_execz .LBB0_8
; %bb.7:
	ds_read2_b32 v[8:9], v18 offset1:1
	ds_read_b64 v[14:15], v24 offset:3840
	ds_read_b64 v[10:11], v24 offset:6144
	;; [unrolled: 1-line block ×7, first 2 shown]
.LBB0_8:
	s_or_b64 exec, exec, s[14:15]
	v_mul_lo_u16_e32 v39, 22, v37
	v_mul_lo_u16_sdwa v38, v39, v38 dst_sel:DWORD dst_unused:UNUSED_PAD src0_sel:BYTE_1 src1_sel:DWORD
	v_sub_u16_e32 v37, v37, v38
	v_and_b32_e32 v37, 0xff, v37
	v_mul_u32_u24_e32 v38, 7, v37
	v_lshlrev_b32_e32 v52, 3, v38
	global_load_dwordx2 v[50:51], v52, s[16:17] offset:120
	global_load_dwordx4 v[38:41], v52, s[16:17] offset:104
	global_load_dwordx4 v[42:45], v52, s[16:17] offset:88
	;; [unrolled: 1-line block ×3, first 2 shown]
	s_load_dwordx2 s[4:5], s[4:5], 0x8
	s_movk_i32 s6, 0x54
	s_waitcnt vmcnt(2) lgkmcnt(0)
	v_mul_f32_e32 v53, v41, v28
	v_fmac_f32_e32 v53, v40, v29
	s_waitcnt vmcnt(0)
	v_mul_f32_e32 v52, v47, v2
	v_fma_f32 v52, v46, v1, -v52
	v_mul_f32_e32 v47, v47, v1
	v_mul_f32_e32 v1, v49, v35
	v_fmac_f32_e32 v47, v46, v2
	v_fma_f32 v46, v48, v34, -v1
	v_mul_f32_e32 v49, v49, v34
	v_mul_f32_e32 v1, v43, v4
	v_fmac_f32_e32 v49, v48, v35
	;; [unrolled: 4-line block ×5, first 2 shown]
	v_fma_f32 v38, v40, v28, -v1
	v_mul_f32_e32 v1, v51, v27
	v_fma_f32 v54, v50, v26, -v1
	v_mul_lo_u16_e32 v1, 22, v36
	v_lshrrev_b16_e32 v34, 8, v1
	v_mul_lo_u16_e32 v1, 12, v34
	v_sub_u16_e32 v1, v36, v1
	v_and_b32_e32 v39, 0xff, v1
	v_mul_f32_e32 v51, v51, v26
	v_mul_u32_u24_e32 v1, 7, v39
	v_fmac_f32_e32 v51, v50, v27
	v_lshlrev_b32_e32 v50, 3, v1
	global_load_dwordx2 v[40:41], v50, s[16:17] offset:120
	global_load_dwordx4 v[1:4], v50, s[16:17] offset:104
	global_load_dwordx4 v[26:29], v50, s[16:17] offset:88
	;; [unrolled: 1-line block ×3, first 2 shown]
	s_waitcnt vmcnt(0)
	v_mul_f32_e32 v50, v15, v31
	v_fma_f32 v50, v14, v30, -v50
	v_mul_f32_e32 v31, v14, v31
	v_mul_f32_e32 v14, v11, v33
	v_fmac_f32_e32 v31, v15, v30
	v_fma_f32 v30, v10, v32, -v14
	v_mul_f32_e32 v33, v10, v33
	v_mul_f32_e32 v10, v13, v27
	v_fmac_f32_e32 v33, v11, v32
	v_fma_f32 v32, v12, v26, -v10
	v_mul_f32_e32 v12, v12, v27
	v_fmac_f32_e32 v12, v13, v26
	v_mul_f32_e32 v10, v19, v29
	v_mul_f32_e32 v26, v18, v29
	v_fma_f32 v13, v18, v28, -v10
	v_fmac_f32_e32 v26, v19, v28
	v_mul_f32_e32 v10, v21, v2
	v_mul_f32_e32 v28, v20, v2
	v_fma_f32 v27, v20, v1, -v10
	v_fmac_f32_e32 v28, v21, v1
	v_mul_f32_e32 v1, v23, v4
	v_fma_f32 v21, v22, v3, -v1
	v_mul_f32_e32 v22, v22, v4
	v_mul_f32_e32 v1, v25, v41
	v_fmac_f32_e32 v22, v23, v3
	v_fma_f32 v23, v24, v40, -v1
	v_mul_f32_e32 v24, v24, v41
	v_sub_f32_e32 v1, v16, v42
	v_sub_f32_e32 v2, v17, v45
	v_fmac_f32_e32 v24, v25, v40
	v_fma_f32 v3, v16, 2.0, -v1
	v_fma_f32 v4, v17, 2.0, -v2
	v_sub_f32_e32 v10, v46, v38
	v_sub_f32_e32 v11, v49, v53
	;; [unrolled: 1-line block ×6, first 2 shown]
	v_fma_f32 v18, v52, 2.0, -v16
	v_fma_f32 v19, v47, 2.0, -v17
	;; [unrolled: 1-line block ×4, first 2 shown]
	v_sub_f32_e32 v41, v1, v11
	v_add_f32_e32 v43, v2, v10
	v_fma_f32 v14, v46, 2.0, -v10
	v_fma_f32 v15, v49, 2.0, -v11
	;; [unrolled: 1-line block ×4, first 2 shown]
	v_sub_f32_e32 v29, v18, v29
	v_sub_f32_e32 v35, v19, v35
	;; [unrolled: 1-line block ×3, first 2 shown]
	v_add_f32_e32 v44, v17, v20
	v_mov_b32_e32 v20, v43
	v_sub_f32_e32 v40, v4, v15
	v_fma_f32 v1, v18, 2.0, -v29
	v_fma_f32 v2, v19, 2.0, -v35
	;; [unrolled: 1-line block ×4, first 2 shown]
	v_mov_b32_e32 v15, v10
	v_mov_b32_e32 v16, v42
	;; [unrolled: 1-line block ×3, first 2 shown]
	v_fmac_f32_e32 v20, 0x3f3504f3, v44
	v_sub_f32_e32 v38, v3, v14
	v_fmac_f32_e32 v15, 0xbf3504f3, v18
	v_fmac_f32_e32 v16, 0xbf3504f3, v17
	;; [unrolled: 1-line block ×4, first 2 shown]
	v_sub_f32_e32 v25, v9, v26
	v_sub_f32_e32 v21, v30, v21
	v_fma_f32 v3, v3, 2.0, -v38
	v_fma_f32 v4, v4, 2.0, -v40
	v_fmac_f32_e32 v15, 0xbf3504f3, v17
	v_fmac_f32_e32 v16, 0x3f3504f3, v18
	v_add_f32_e32 v18, v40, v29
	v_fmac_f32_e32 v19, 0xbf3504f3, v44
	v_fma_f32 v44, v43, 2.0, -v20
	v_sub_f32_e32 v13, v8, v13
	v_sub_f32_e32 v22, v33, v22
	;; [unrolled: 1-line block ×6, first 2 shown]
	v_add_f32_e32 v43, v25, v21
	v_sub_f32_e32 v14, v3, v1
	v_sub_f32_e32 v45, v4, v2
	v_fma_f32 v2, v10, 2.0, -v15
	v_fma_f32 v10, v42, 2.0, -v16
	v_sub_f32_e32 v17, v38, v35
	v_fma_f32 v42, v40, 2.0, -v18
	v_fma_f32 v9, v9, 2.0, -v25
	;; [unrolled: 1-line block ×7, first 2 shown]
	v_sub_f32_e32 v40, v13, v22
	v_fma_f32 v25, v25, 2.0, -v43
	v_add_f32_e32 v47, v28, v23
	v_fma_f32 v1, v3, 2.0, -v14
	v_fma_f32 v3, v38, 2.0, -v17
	;; [unrolled: 1-line block ×5, first 2 shown]
	v_sub_f32_e32 v38, v30, v32
	v_sub_f32_e32 v12, v31, v12
	v_sub_f32_e32 v46, v27, v24
	v_fma_f32 v24, v28, 2.0, -v47
	v_mov_b32_e32 v32, v25
	v_sub_f32_e32 v26, v8, v26
	v_sub_f32_e32 v35, v9, v29
	v_fma_f32 v22, v31, 2.0, -v12
	v_fma_f32 v23, v27, 2.0, -v46
	v_mov_b32_e32 v31, v13
	v_fmac_f32_e32 v32, 0xbf3504f3, v24
	v_fma_f32 v11, v4, 2.0, -v45
	v_fma_f32 v4, v41, 2.0, -v19
	v_fmac_f32_e32 v31, 0xbf3504f3, v23
	v_fmac_f32_e32 v32, 0x3f3504f3, v23
	v_sub_f32_e32 v33, v26, v12
	v_add_f32_e32 v41, v35, v38
	v_fma_f32 v8, v8, 2.0, -v26
	v_fma_f32 v9, v9, 2.0, -v35
	v_fmac_f32_e32 v31, 0xbf3504f3, v24
	v_fma_f32 v24, v25, 2.0, -v32
	v_fma_f32 v25, v26, 2.0, -v33
	;; [unrolled: 1-line block ×3, first 2 shown]
	v_mov_b32_e32 v35, v40
	v_fmac_f32_e32 v35, 0x3f3504f3, v46
	v_fmac_f32_e32 v35, 0xbf3504f3, v47
	v_fma_f32 v27, v40, 2.0, -v35
	v_mul_lo_u32 v40, v7, v37
	v_fma_f32 v21, v30, 2.0, -v38
	v_sub_f32_e32 v29, v8, v21
	v_sub_f32_e32 v30, v9, v22
	v_fma_f32 v21, v8, 2.0, -v29
	v_lshlrev_b32_sdwa v8, v6, v40 dst_sel:DWORD dst_unused:UNUSED_PAD src0_sel:DWORD src1_sel:BYTE_0
	v_lshlrev_b32_sdwa v12, v6, v40 dst_sel:DWORD dst_unused:UNUSED_PAD src0_sel:DWORD src1_sel:BYTE_1
	v_fma_f32 v22, v9, 2.0, -v30
	v_fma_f32 v23, v13, 2.0, -v31
	global_load_dwordx2 v[8:9], v8, s[4:5]
	v_mov_b32_e32 v38, v43
	global_load_dwordx2 v[12:13], v12, s[4:5] offset:2048
	v_fmac_f32_e32 v38, 0x3f3504f3, v47
	v_fmac_f32_e32 v38, 0x3f3504f3, v46
	v_fma_f32 v28, v43, 2.0, -v38
	v_mov_b32_e32 v48, 0x1000
	s_waitcnt vmcnt(0)
	v_mul_f32_e32 v43, v9, v13
	v_fma_f32 v43, v8, v12, -v43
	v_mul_f32_e32 v13, v8, v13
	v_bfe_u32 v8, v40, 16, 8
	v_lshl_or_b32 v8, v8, 3, v48
	v_fmac_f32_e32 v13, v9, v12
	global_load_dwordx2 v[8:9], v8, s[4:5]
	s_waitcnt vmcnt(0)
	v_mul_f32_e32 v12, v13, v9
	v_mul_f32_e32 v9, v43, v9
	v_fmac_f32_e32 v9, v8, v13
	v_fma_f32 v40, v8, v43, -v12
	v_mul_f32_e32 v8, v11, v9
	v_mul_f32_e32 v13, v1, v9
	v_fma_f32 v12, v1, v40, -v8
	v_fmac_f32_e32 v13, v11, v40
	v_add_u32_e32 v40, 12, v37
	v_mul_lo_u32 v1, v7, v40
	v_lshlrev_b32_sdwa v8, v6, v1 dst_sel:DWORD dst_unused:UNUSED_PAD src0_sel:DWORD src1_sel:BYTE_0
	v_lshlrev_b32_sdwa v11, v6, v1 dst_sel:DWORD dst_unused:UNUSED_PAD src0_sel:DWORD src1_sel:BYTE_1
	global_load_dwordx2 v[8:9], v8, s[4:5]
	v_bfe_u32 v1, v1, 16, 8
	global_load_dwordx2 v[46:47], v11, s[4:5] offset:2048
	v_lshl_or_b32 v1, v1, 3, v48
	s_waitcnt vmcnt(0)
	v_mul_f32_e32 v11, v9, v47
	v_mul_f32_e32 v43, v8, v47
	v_fma_f32 v11, v8, v46, -v11
	v_fmac_f32_e32 v43, v9, v46
	global_load_dwordx2 v[8:9], v1, s[4:5]
	s_waitcnt vmcnt(0)
	v_mul_f32_e32 v1, v43, v9
	v_mul_f32_e32 v9, v11, v9
	v_fmac_f32_e32 v9, v8, v43
	v_fma_f32 v46, v8, v11, -v1
	v_mul_f32_e32 v1, v10, v9
	v_fma_f32 v1, v2, v46, -v1
	v_mul_f32_e32 v2, v2, v9
	v_add_u32_e32 v43, 24, v37
	v_fmac_f32_e32 v2, v10, v46
	v_mul_lo_u32 v46, v7, v43
	v_lshlrev_b32_sdwa v8, v6, v46 dst_sel:DWORD dst_unused:UNUSED_PAD src0_sel:DWORD src1_sel:BYTE_0
	v_lshlrev_b32_sdwa v10, v6, v46 dst_sel:DWORD dst_unused:UNUSED_PAD src0_sel:DWORD src1_sel:BYTE_1
	global_load_dwordx2 v[8:9], v8, s[4:5]
	s_nop 0
	global_load_dwordx2 v[10:11], v10, s[4:5] offset:2048
	s_waitcnt vmcnt(0)
	v_mul_f32_e32 v47, v9, v11
	v_fma_f32 v47, v8, v10, -v47
	v_mul_f32_e32 v11, v8, v11
	v_bfe_u32 v8, v46, 16, 8
	v_lshl_or_b32 v8, v8, 3, v48
	v_fmac_f32_e32 v11, v9, v10
	global_load_dwordx2 v[8:9], v8, s[4:5]
	s_waitcnt vmcnt(0)
	v_mul_f32_e32 v10, v11, v9
	v_mul_f32_e32 v9, v47, v9
	v_fmac_f32_e32 v9, v8, v11
	v_fma_f32 v46, v8, v47, -v10
	v_mul_f32_e32 v11, v3, v9
	v_mul_f32_e32 v8, v42, v9
	v_fmac_f32_e32 v11, v42, v46
	v_add_u32_e32 v42, 36, v37
	v_fma_f32 v10, v3, v46, -v8
	v_mul_lo_u32 v3, v7, v42
	v_lshlrev_b32_sdwa v8, v6, v3 dst_sel:DWORD dst_unused:UNUSED_PAD src0_sel:DWORD src1_sel:BYTE_0
	v_lshlrev_b32_sdwa v46, v6, v3 dst_sel:DWORD dst_unused:UNUSED_PAD src0_sel:DWORD src1_sel:BYTE_1
	global_load_dwordx2 v[8:9], v8, s[4:5]
	v_bfe_u32 v3, v3, 16, 8
	global_load_dwordx2 v[46:47], v46, s[4:5] offset:2048
	v_lshl_or_b32 v3, v3, 3, v48
	s_waitcnt vmcnt(0)
	v_mul_f32_e32 v49, v9, v47
	v_mul_f32_e32 v47, v8, v47
	v_fma_f32 v49, v8, v46, -v49
	v_fmac_f32_e32 v47, v9, v46
	global_load_dwordx2 v[8:9], v3, s[4:5]
	s_waitcnt vmcnt(0)
	v_mul_f32_e32 v3, v47, v9
	v_mul_f32_e32 v9, v49, v9
	v_fmac_f32_e32 v9, v8, v47
	v_fma_f32 v46, v8, v49, -v3
	v_mul_f32_e32 v3, v44, v9
	v_fma_f32 v3, v4, v46, -v3
	v_mul_f32_e32 v4, v4, v9
	v_fmac_f32_e32 v4, v44, v46
	v_or_b32_e32 v44, 48, v37
	v_mul_lo_u32 v49, v7, v44
	v_lshlrev_b32_sdwa v8, v6, v49 dst_sel:DWORD dst_unused:UNUSED_PAD src0_sel:DWORD src1_sel:BYTE_0
	v_lshlrev_b32_sdwa v46, v6, v49 dst_sel:DWORD dst_unused:UNUSED_PAD src0_sel:DWORD src1_sel:BYTE_1
	global_load_dwordx2 v[8:9], v8, s[4:5]
	s_nop 0
	global_load_dwordx2 v[46:47], v46, s[4:5] offset:2048
	s_waitcnt vmcnt(0)
	v_mul_f32_e32 v50, v9, v47
	v_fma_f32 v50, v8, v46, -v50
	v_mul_f32_e32 v47, v8, v47
	v_bfe_u32 v8, v49, 16, 8
	v_lshl_or_b32 v8, v8, 3, v48
	v_fmac_f32_e32 v47, v9, v46
	global_load_dwordx2 v[8:9], v8, s[4:5]
	s_waitcnt vmcnt(0)
	v_mul_f32_e32 v46, v47, v9
	v_mul_f32_e32 v9, v50, v9
	v_fmac_f32_e32 v9, v8, v47
	v_fma_f32 v46, v8, v50, -v46
	v_mul_f32_e32 v8, v45, v9
	v_mul_f32_e32 v9, v14, v9
	v_fmac_f32_e32 v9, v45, v46
	v_add_u32_e32 v45, 60, v37
	v_fma_f32 v8, v14, v46, -v8
	v_mul_lo_u32 v14, v7, v45
	v_lshlrev_b32_sdwa v46, v6, v14 dst_sel:DWORD dst_unused:UNUSED_PAD src0_sel:DWORD src1_sel:BYTE_0
	v_lshlrev_b32_sdwa v49, v6, v14 dst_sel:DWORD dst_unused:UNUSED_PAD src0_sel:DWORD src1_sel:BYTE_1
	global_load_dwordx2 v[46:47], v46, s[4:5]
	v_bfe_u32 v14, v14, 16, 8
	global_load_dwordx2 v[49:50], v49, s[4:5] offset:2048
	v_lshl_or_b32 v14, v14, 3, v48
	s_waitcnt vmcnt(0)
	v_mul_f32_e32 v51, v47, v50
	v_mul_f32_e32 v50, v46, v50
	v_fma_f32 v51, v46, v49, -v51
	v_fmac_f32_e32 v50, v47, v49
	global_load_dwordx2 v[46:47], v14, s[4:5]
	s_waitcnt vmcnt(0)
	v_mul_f32_e32 v14, v50, v47
	v_mul_f32_e32 v47, v51, v47
	v_fmac_f32_e32 v47, v46, v50
	v_fma_f32 v49, v46, v51, -v14
	v_mul_f32_e32 v14, v16, v47
	v_fma_f32 v14, v15, v49, -v14
	v_mul_f32_e32 v15, v15, v47
	v_add_u32_e32 v46, 0x48, v37
	v_fmac_f32_e32 v15, v16, v49
	v_mul_lo_u32 v16, v7, v46
	v_lshlrev_b32_sdwa v47, v6, v16 dst_sel:DWORD dst_unused:UNUSED_PAD src0_sel:DWORD src1_sel:BYTE_0
	global_load_dwordx2 v[49:50], v47, s[4:5]
	v_lshlrev_b32_sdwa v47, v6, v16 dst_sel:DWORD dst_unused:UNUSED_PAD src0_sel:DWORD src1_sel:BYTE_1
	global_load_dwordx2 v[51:52], v47, s[4:5] offset:2048
	v_bfe_u32 v16, v16, 16, 8
	v_lshl_or_b32 v16, v16, 3, v48
	s_waitcnt vmcnt(0)
	v_mul_f32_e32 v47, v50, v52
	v_mul_f32_e32 v52, v49, v52
	v_fma_f32 v47, v49, v51, -v47
	v_fmac_f32_e32 v52, v50, v51
	global_load_dwordx2 v[49:50], v16, s[4:5]
	s_waitcnt vmcnt(0)
	v_mul_f32_e32 v16, v52, v50
	v_fma_f32 v51, v49, v47, -v16
	v_mul_f32_e32 v47, v47, v50
	v_fmac_f32_e32 v47, v49, v52
	v_mul_f32_e32 v16, v18, v47
	v_fma_f32 v16, v17, v51, -v16
	v_mul_f32_e32 v17, v17, v47
	v_add_u32_e32 v47, 0x54, v37
	v_fmac_f32_e32 v17, v18, v51
	v_mul_lo_u32 v18, v7, v47
	v_lshlrev_b32_sdwa v49, v6, v18 dst_sel:DWORD dst_unused:UNUSED_PAD src0_sel:DWORD src1_sel:BYTE_0
	v_lshlrev_b32_sdwa v51, v6, v18 dst_sel:DWORD dst_unused:UNUSED_PAD src0_sel:DWORD src1_sel:BYTE_1
	global_load_dwordx2 v[49:50], v49, s[4:5]
	v_bfe_u32 v18, v18, 16, 8
	global_load_dwordx2 v[51:52], v51, s[4:5] offset:2048
	v_lshl_or_b32 v18, v18, 3, v48
	s_waitcnt vmcnt(0)
	v_mul_f32_e32 v53, v50, v52
	v_mul_f32_e32 v52, v49, v52
	v_fma_f32 v53, v49, v51, -v53
	v_fmac_f32_e32 v52, v50, v51
	global_load_dwordx2 v[49:50], v18, s[4:5]
	s_waitcnt vmcnt(0)
	v_mul_f32_e32 v18, v52, v50
	v_mul_f32_e32 v50, v53, v50
	v_fmac_f32_e32 v50, v49, v52
	v_fma_f32 v51, v49, v53, -v18
	v_mul_f32_e32 v18, v20, v50
	v_fma_f32 v18, v19, v51, -v18
	v_mul_f32_e32 v19, v19, v50
	v_fmac_f32_e32 v19, v20, v51
	v_mul_lo_u32 v20, v7, v39
	v_lshlrev_b32_sdwa v49, v6, v20 dst_sel:DWORD dst_unused:UNUSED_PAD src0_sel:DWORD src1_sel:BYTE_0
	v_lshlrev_b32_sdwa v51, v6, v20 dst_sel:DWORD dst_unused:UNUSED_PAD src0_sel:DWORD src1_sel:BYTE_1
	global_load_dwordx2 v[49:50], v49, s[4:5]
	v_bfe_u32 v20, v20, 16, 8
	global_load_dwordx2 v[51:52], v51, s[4:5] offset:2048
	v_lshl_or_b32 v20, v20, 3, v48
	s_waitcnt vmcnt(0)
	v_mul_f32_e32 v53, v50, v52
	v_mul_f32_e32 v52, v49, v52
	v_fma_f32 v53, v49, v51, -v53
	v_fmac_f32_e32 v52, v50, v51
	global_load_dwordx2 v[49:50], v20, s[4:5]
	s_waitcnt vmcnt(0)
	v_mul_f32_e32 v20, v52, v50
	v_mul_f32_e32 v50, v53, v50
	v_fmac_f32_e32 v50, v49, v52
	v_fma_f32 v51, v49, v53, -v20
	v_mul_f32_e32 v20, v22, v50
	v_fma_f32 v20, v21, v51, -v20
	v_mul_f32_e32 v21, v21, v50
	v_fmac_f32_e32 v21, v22, v51
	v_add_u32_e32 v22, 12, v39
	v_mul_lo_u32 v22, v7, v22
	v_lshlrev_b32_sdwa v49, v6, v22 dst_sel:DWORD dst_unused:UNUSED_PAD src0_sel:DWORD src1_sel:BYTE_0
	v_lshlrev_b32_sdwa v51, v6, v22 dst_sel:DWORD dst_unused:UNUSED_PAD src0_sel:DWORD src1_sel:BYTE_1
	global_load_dwordx2 v[49:50], v49, s[4:5]
	v_bfe_u32 v22, v22, 16, 8
	global_load_dwordx2 v[51:52], v51, s[4:5] offset:2048
	v_lshl_or_b32 v22, v22, 3, v48
	s_waitcnt vmcnt(0)
	v_mul_f32_e32 v53, v50, v52
	v_mul_f32_e32 v52, v49, v52
	v_fma_f32 v53, v49, v51, -v53
	v_fmac_f32_e32 v52, v50, v51
	global_load_dwordx2 v[49:50], v22, s[4:5]
	s_waitcnt vmcnt(0)
	v_mul_f32_e32 v22, v52, v50
	v_mul_f32_e32 v50, v53, v50
	v_fmac_f32_e32 v50, v49, v52
	v_fma_f32 v51, v49, v53, -v22
	v_mul_f32_e32 v22, v24, v50
	v_fma_f32 v22, v23, v51, -v22
	v_mul_f32_e32 v23, v23, v50
	v_fmac_f32_e32 v23, v24, v51
	v_add_u32_e32 v24, 24, v39
	;; [unrolled: 23-line block ×3, first 2 shown]
	v_mul_lo_u32 v26, v7, v26
	v_lshlrev_b32_sdwa v49, v6, v26 dst_sel:DWORD dst_unused:UNUSED_PAD src0_sel:DWORD src1_sel:BYTE_0
	v_lshlrev_b32_sdwa v51, v6, v26 dst_sel:DWORD dst_unused:UNUSED_PAD src0_sel:DWORD src1_sel:BYTE_1
	global_load_dwordx2 v[49:50], v49, s[4:5]
	v_bfe_u32 v26, v26, 16, 8
	global_load_dwordx2 v[51:52], v51, s[4:5] offset:2048
	v_lshl_or_b32 v26, v26, 3, v48
	s_waitcnt vmcnt(0)
	v_mul_f32_e32 v53, v50, v52
	v_mul_f32_e32 v52, v49, v52
	v_fma_f32 v53, v49, v51, -v53
	v_fmac_f32_e32 v52, v50, v51
	global_load_dwordx2 v[49:50], v26, s[4:5]
	s_waitcnt vmcnt(0)
	v_mul_f32_e32 v26, v52, v50
	v_mul_f32_e32 v50, v53, v50
	v_fmac_f32_e32 v50, v49, v52
	v_fma_f32 v51, v49, v53, -v26
	v_mul_f32_e32 v26, v28, v50
	v_fma_f32 v26, v27, v51, -v26
	v_mul_f32_e32 v27, v27, v50
	v_fmac_f32_e32 v27, v28, v51
	v_or_b32_e32 v28, 48, v39
	v_mul_lo_u32 v28, v7, v28
	v_lshlrev_b32_sdwa v49, v6, v28 dst_sel:DWORD dst_unused:UNUSED_PAD src0_sel:DWORD src1_sel:BYTE_0
	v_lshlrev_b32_sdwa v51, v6, v28 dst_sel:DWORD dst_unused:UNUSED_PAD src0_sel:DWORD src1_sel:BYTE_1
	global_load_dwordx2 v[49:50], v49, s[4:5]
	v_bfe_u32 v28, v28, 16, 8
	global_load_dwordx2 v[51:52], v51, s[4:5] offset:2048
	v_lshl_or_b32 v28, v28, 3, v48
	s_waitcnt vmcnt(0)
	v_mul_f32_e32 v53, v50, v52
	v_mul_f32_e32 v52, v49, v52
	v_fma_f32 v53, v49, v51, -v53
	v_fmac_f32_e32 v52, v50, v51
	global_load_dwordx2 v[49:50], v28, s[4:5]
	s_waitcnt vmcnt(0)
	v_mul_f32_e32 v28, v52, v50
	v_mul_f32_e32 v50, v53, v50
	v_fmac_f32_e32 v50, v49, v52
	v_fma_f32 v51, v49, v53, -v28
	v_mul_f32_e32 v28, v30, v50
	v_fma_f32 v28, v29, v51, -v28
	v_mul_f32_e32 v29, v29, v50
	v_fmac_f32_e32 v29, v30, v51
	v_add_u32_e32 v30, 60, v39
	v_mul_lo_u32 v30, v7, v30
	v_lshlrev_b32_sdwa v49, v6, v30 dst_sel:DWORD dst_unused:UNUSED_PAD src0_sel:DWORD src1_sel:BYTE_0
	v_lshlrev_b32_sdwa v51, v6, v30 dst_sel:DWORD dst_unused:UNUSED_PAD src0_sel:DWORD src1_sel:BYTE_1
	global_load_dwordx2 v[49:50], v49, s[4:5]
	v_bfe_u32 v30, v30, 16, 8
	global_load_dwordx2 v[51:52], v51, s[4:5] offset:2048
	v_lshl_or_b32 v30, v30, 3, v48
	s_waitcnt vmcnt(0)
	v_mul_f32_e32 v53, v50, v52
	v_mul_f32_e32 v52, v49, v52
	v_fma_f32 v53, v49, v51, -v53
	v_fmac_f32_e32 v52, v50, v51
	global_load_dwordx2 v[49:50], v30, s[4:5]
	s_waitcnt vmcnt(0)
	v_mul_f32_e32 v30, v52, v50
	v_mul_f32_e32 v50, v53, v50
	v_fmac_f32_e32 v50, v49, v52
	v_fma_f32 v51, v49, v53, -v30
	v_mul_f32_e32 v30, v32, v50
	v_fma_f32 v30, v31, v51, -v30
	v_mul_f32_e32 v31, v31, v50
	v_fmac_f32_e32 v31, v32, v51
	v_add_u32_e32 v32, 0x48, v39
	v_mul_lo_u32 v32, v7, v32
	v_add_u32_e32 v39, 0x54, v39
	v_mul_lo_u32 v39, v7, v39
	v_lshlrev_b32_sdwa v49, v6, v32 dst_sel:DWORD dst_unused:UNUSED_PAD src0_sel:DWORD src1_sel:BYTE_0
	v_lshlrev_b32_sdwa v51, v6, v32 dst_sel:DWORD dst_unused:UNUSED_PAD src0_sel:DWORD src1_sel:BYTE_1
	global_load_dwordx2 v[49:50], v49, s[4:5]
	v_bfe_u32 v32, v32, 16, 8
	global_load_dwordx2 v[51:52], v51, s[4:5] offset:2048
	v_lshl_or_b32 v32, v32, 3, v48
	v_lshlrev_b32_sdwa v7, v6, v39 dst_sel:DWORD dst_unused:UNUSED_PAD src0_sel:DWORD src1_sel:BYTE_0
	v_lshlrev_b32_sdwa v6, v6, v39 dst_sel:DWORD dst_unused:UNUSED_PAD src0_sel:DWORD src1_sel:BYTE_1
	s_waitcnt vmcnt(0)
	v_mul_f32_e32 v53, v50, v52
	v_mul_f32_e32 v52, v49, v52
	v_fma_f32 v53, v49, v51, -v53
	v_fmac_f32_e32 v52, v50, v51
	global_load_dwordx2 v[49:50], v32, s[4:5]
	s_waitcnt vmcnt(0)
	v_mul_f32_e32 v32, v52, v50
	v_mul_f32_e32 v50, v53, v50
	v_fmac_f32_e32 v50, v49, v52
	v_fma_f32 v51, v49, v53, -v32
	v_mul_f32_e32 v32, v41, v50
	v_fma_f32 v32, v33, v51, -v32
	v_mul_f32_e32 v33, v33, v50
	global_load_dwordx2 v[49:50], v7, s[4:5]
	v_fmac_f32_e32 v33, v41, v51
	global_load_dwordx2 v[6:7], v6, s[4:5] offset:2048
	s_waitcnt vmcnt(0)
	v_mul_f32_e32 v41, v50, v7
	v_fma_f32 v41, v49, v6, -v41
	v_mul_f32_e32 v49, v49, v7
	v_fmac_f32_e32 v49, v50, v6
	v_bfe_u32 v6, v39, 16, 8
	v_lshl_or_b32 v6, v6, 3, v48
	global_load_dwordx2 v[6:7], v6, s[4:5]
	s_movk_i32 s4, 0x5f
	v_cmp_lt_u32_e64 s[4:5], s4, v0
	s_or_b64 s[0:1], s[4:5], s[0:1]
	s_waitcnt vmcnt(0)
	v_mul_f32_e32 v39, v49, v7
	v_mul_f32_e32 v7, v41, v7
	v_fmac_f32_e32 v7, v6, v49
	v_fma_f32 v39, v6, v41, -v39
	v_mul_f32_e32 v6, v38, v7
	v_fma_f32 v6, v35, v39, -v6
	v_mul_f32_e32 v7, v35, v7
	v_mul_lo_u32 v35, s12, v37
	v_fmac_f32_e32 v7, v38, v39
	v_add_lshl_u32 v35, v5, v35, 3
	v_cndmask_b32_e64 v35, -1, v35, s[2:3]
	buffer_store_dwordx2 v[12:13], v35, s[8:11], s13 offen
	v_mul_lo_u32 v12, s12, v40
	v_add_lshl_u32 v12, v5, v12, 3
	v_cndmask_b32_e64 v12, -1, v12, s[2:3]
	buffer_store_dwordx2 v[1:2], v12, s[8:11], s13 offen
	v_mul_lo_u32 v1, s12, v43
	;; [unrolled: 4-line block ×4, first 2 shown]
	v_cndmask_b32_e64 v3, 0, 1, vcc
	v_add_lshl_u32 v1, v5, v1, 3
	v_cndmask_b32_e64 v1, -1, v1, s[2:3]
	buffer_store_dwordx2 v[8:9], v1, s[8:11], s13 offen
	v_mul_lo_u32 v1, s12, v45
	v_add_lshl_u32 v1, v5, v1, 3
	v_cndmask_b32_e64 v1, -1, v1, s[2:3]
	buffer_store_dwordx2 v[14:15], v1, s[8:11], s13 offen
	v_mul_lo_u32 v1, s12, v46
	;; [unrolled: 4-line block ×3, first 2 shown]
	v_add_lshl_u32 v1, v5, v1, 3
	v_cndmask_b32_e64 v1, -1, v1, s[2:3]
	buffer_store_dwordx2 v[18:19], v1, s[8:11], s13 offen
	v_mad_u32_u24 v1, v34, s6, v36
	v_mul_lo_u32 v2, s12, v1
	v_cmp_gt_u32_e64 s[2:3], s18, v0
	v_cndmask_b32_e64 v0, 0, 1, s[2:3]
	v_cndmask_b32_e64 v0, v3, v0, s[0:1]
	v_and_b32_e32 v0, 1, v0
	v_cmp_eq_u32_e32 vcc, 1, v0
	v_add_lshl_u32 v0, v5, v2, 3
	v_cndmask_b32_e32 v0, -1, v0, vcc
	buffer_store_dwordx2 v[20:21], v0, s[8:11], s13 offen
	v_add_u32_e32 v0, 12, v1
	v_mul_lo_u32 v0, s12, v0
	v_add_lshl_u32 v0, v5, v0, 3
	v_cndmask_b32_e32 v0, -1, v0, vcc
	buffer_store_dwordx2 v[22:23], v0, s[8:11], s13 offen
	v_add_u32_e32 v0, 24, v1
	v_mul_lo_u32 v0, s12, v0
	;; [unrolled: 5-line block ×7, first 2 shown]
	v_add_lshl_u32 v0, v5, v0, 3
	v_cndmask_b32_e32 v0, -1, v0, vcc
	buffer_store_dwordx2 v[6:7], v0, s[8:11], s13 offen
	s_endpgm
	.section	.rodata,"a",@progbits
	.p2align	6, 0x0
	.amdhsa_kernel fft_rtc_fwd_len96_factors_3_4_8_wgs_192_tpt_8_dim3_sp_ip_CI_sbcc_twdbase8_3step_dirReg_intrinsicReadWrite
		.amdhsa_group_segment_fixed_size 0
		.amdhsa_private_segment_fixed_size 0
		.amdhsa_kernarg_size 88
		.amdhsa_user_sgpr_count 6
		.amdhsa_user_sgpr_private_segment_buffer 1
		.amdhsa_user_sgpr_dispatch_ptr 0
		.amdhsa_user_sgpr_queue_ptr 0
		.amdhsa_user_sgpr_kernarg_segment_ptr 1
		.amdhsa_user_sgpr_dispatch_id 0
		.amdhsa_user_sgpr_flat_scratch_init 0
		.amdhsa_user_sgpr_private_segment_size 0
		.amdhsa_uses_dynamic_stack 0
		.amdhsa_system_sgpr_private_segment_wavefront_offset 0
		.amdhsa_system_sgpr_workgroup_id_x 1
		.amdhsa_system_sgpr_workgroup_id_y 0
		.amdhsa_system_sgpr_workgroup_id_z 0
		.amdhsa_system_sgpr_workgroup_info 0
		.amdhsa_system_vgpr_workitem_id 0
		.amdhsa_next_free_vgpr 55
		.amdhsa_next_free_sgpr 28
		.amdhsa_reserve_vcc 1
		.amdhsa_reserve_flat_scratch 0
		.amdhsa_float_round_mode_32 0
		.amdhsa_float_round_mode_16_64 0
		.amdhsa_float_denorm_mode_32 3
		.amdhsa_float_denorm_mode_16_64 3
		.amdhsa_dx10_clamp 1
		.amdhsa_ieee_mode 1
		.amdhsa_fp16_overflow 0
		.amdhsa_exception_fp_ieee_invalid_op 0
		.amdhsa_exception_fp_denorm_src 0
		.amdhsa_exception_fp_ieee_div_zero 0
		.amdhsa_exception_fp_ieee_overflow 0
		.amdhsa_exception_fp_ieee_underflow 0
		.amdhsa_exception_fp_ieee_inexact 0
		.amdhsa_exception_int_div_zero 0
	.end_amdhsa_kernel
	.text
.Lfunc_end0:
	.size	fft_rtc_fwd_len96_factors_3_4_8_wgs_192_tpt_8_dim3_sp_ip_CI_sbcc_twdbase8_3step_dirReg_intrinsicReadWrite, .Lfunc_end0-fft_rtc_fwd_len96_factors_3_4_8_wgs_192_tpt_8_dim3_sp_ip_CI_sbcc_twdbase8_3step_dirReg_intrinsicReadWrite
                                        ; -- End function
	.section	.AMDGPU.csdata,"",@progbits
; Kernel info:
; codeLenInByte = 6832
; NumSgprs: 32
; NumVgprs: 55
; ScratchSize: 0
; MemoryBound: 0
; FloatMode: 240
; IeeeMode: 1
; LDSByteSize: 0 bytes/workgroup (compile time only)
; SGPRBlocks: 3
; VGPRBlocks: 13
; NumSGPRsForWavesPerEU: 32
; NumVGPRsForWavesPerEU: 55
; Occupancy: 4
; WaveLimiterHint : 0
; COMPUTE_PGM_RSRC2:SCRATCH_EN: 0
; COMPUTE_PGM_RSRC2:USER_SGPR: 6
; COMPUTE_PGM_RSRC2:TRAP_HANDLER: 0
; COMPUTE_PGM_RSRC2:TGID_X_EN: 1
; COMPUTE_PGM_RSRC2:TGID_Y_EN: 0
; COMPUTE_PGM_RSRC2:TGID_Z_EN: 0
; COMPUTE_PGM_RSRC2:TIDIG_COMP_CNT: 0
	.type	__hip_cuid_f3e954d2a2b70087,@object ; @__hip_cuid_f3e954d2a2b70087
	.section	.bss,"aw",@nobits
	.globl	__hip_cuid_f3e954d2a2b70087
__hip_cuid_f3e954d2a2b70087:
	.byte	0                               ; 0x0
	.size	__hip_cuid_f3e954d2a2b70087, 1

	.ident	"AMD clang version 19.0.0git (https://github.com/RadeonOpenCompute/llvm-project roc-6.4.0 25133 c7fe45cf4b819c5991fe208aaa96edf142730f1d)"
	.section	".note.GNU-stack","",@progbits
	.addrsig
	.addrsig_sym __hip_cuid_f3e954d2a2b70087
	.amdgpu_metadata
---
amdhsa.kernels:
  - .args:
      - .actual_access:  read_only
        .address_space:  global
        .offset:         0
        .size:           8
        .value_kind:     global_buffer
      - .address_space:  global
        .offset:         8
        .size:           8
        .value_kind:     global_buffer
      - .actual_access:  read_only
        .address_space:  global
        .offset:         16
        .size:           8
        .value_kind:     global_buffer
      - .actual_access:  read_only
        .address_space:  global
        .offset:         24
        .size:           8
        .value_kind:     global_buffer
      - .offset:         32
        .size:           8
        .value_kind:     by_value
      - .actual_access:  read_only
        .address_space:  global
        .offset:         40
        .size:           8
        .value_kind:     global_buffer
      - .actual_access:  read_only
        .address_space:  global
        .offset:         48
        .size:           8
        .value_kind:     global_buffer
      - .offset:         56
        .size:           4
        .value_kind:     by_value
      - .actual_access:  read_only
        .address_space:  global
        .offset:         64
        .size:           8
        .value_kind:     global_buffer
      - .actual_access:  read_only
        .address_space:  global
        .offset:         72
        .size:           8
        .value_kind:     global_buffer
      - .address_space:  global
        .offset:         80
        .size:           8
        .value_kind:     global_buffer
    .group_segment_fixed_size: 0
    .kernarg_segment_align: 8
    .kernarg_segment_size: 88
    .language:       OpenCL C
    .language_version:
      - 2
      - 0
    .max_flat_workgroup_size: 192
    .name:           fft_rtc_fwd_len96_factors_3_4_8_wgs_192_tpt_8_dim3_sp_ip_CI_sbcc_twdbase8_3step_dirReg_intrinsicReadWrite
    .private_segment_fixed_size: 0
    .sgpr_count:     32
    .sgpr_spill_count: 0
    .symbol:         fft_rtc_fwd_len96_factors_3_4_8_wgs_192_tpt_8_dim3_sp_ip_CI_sbcc_twdbase8_3step_dirReg_intrinsicReadWrite.kd
    .uniform_work_group_size: 1
    .uses_dynamic_stack: false
    .vgpr_count:     55
    .vgpr_spill_count: 0
    .wavefront_size: 64
amdhsa.target:   amdgcn-amd-amdhsa--gfx906
amdhsa.version:
  - 1
  - 2
...

	.end_amdgpu_metadata
